;; amdgpu-corpus repo=ROCm/rocFFT kind=compiled arch=gfx906 opt=O3
	.text
	.amdgcn_target "amdgcn-amd-amdhsa--gfx906"
	.amdhsa_code_object_version 6
	.protected	fft_rtc_fwd_len256_factors_4_4_4_4_wgs_256_tpt_32_half_op_CI_CI_sbrc_unaligned ; -- Begin function fft_rtc_fwd_len256_factors_4_4_4_4_wgs_256_tpt_32_half_op_CI_CI_sbrc_unaligned
	.globl	fft_rtc_fwd_len256_factors_4_4_4_4_wgs_256_tpt_32_half_op_CI_CI_sbrc_unaligned
	.p2align	8
	.type	fft_rtc_fwd_len256_factors_4_4_4_4_wgs_256_tpt_32_half_op_CI_CI_sbrc_unaligned,@function
fft_rtc_fwd_len256_factors_4_4_4_4_wgs_256_tpt_32_half_op_CI_CI_sbrc_unaligned: ; @fft_rtc_fwd_len256_factors_4_4_4_4_wgs_256_tpt_32_half_op_CI_CI_sbrc_unaligned
; %bb.0:
	s_load_dwordx8 s[8:15], s[4:5], 0x0
	s_mov_b32 s34, 0
	s_mov_b32 s30, 3
	s_mov_b64 s[36:37], 2
	s_mov_b32 s40, s34
	s_waitcnt lgkmcnt(0)
	s_load_dword s33, s[12:13], 0x8
	s_load_dwordx4 s[20:23], s[4:5], 0x58
	s_load_dwordx2 s[28:29], s[4:5], 0x20
	s_load_dwordx4 s[24:27], s[14:15], 0x0
	s_waitcnt lgkmcnt(0)
	s_add_i32 s0, s33, -1
	s_lshr_b32 s0, s0, 3
	s_add_i32 s7, s0, 1
	v_cvt_f32_u32_e32 v1, s7
	s_sub_i32 s2, 0, s7
	s_load_dwordx4 s[16:19], s[28:29], 0x0
	v_cmp_gt_u64_e64 s[0:1], s[10:11], 2
	v_rcp_iflag_f32_e32 v1, v1
	v_mul_f32_e32 v1, 0x4f7ffffe, v1
	v_cvt_u32_f32_e32 v1, v1
	v_readfirstlane_b32 s3, v1
	s_mul_i32 s2, s2, s3
	s_mul_hi_u32 s2, s3, s2
	s_add_i32 s3, s3, s2
	s_mul_hi_u32 s2, s6, s3
	s_mul_i32 s3, s2, s7
	s_sub_i32 s3, s6, s3
	s_add_i32 s4, s2, 1
	s_sub_i32 s5, s3, s7
	s_cmp_ge_u32 s3, s7
	s_cselect_b32 s2, s4, s2
	s_cselect_b32 s3, s5, s3
	s_add_i32 s4, s2, 1
	s_cmp_ge_u32 s3, s7
	s_cselect_b32 s31, s4, s2
	s_mul_i32 s2, s31, s7
	s_sub_i32 s2, s6, s2
	s_waitcnt lgkmcnt(0)
	s_lshl_b32 s19, s2, 3
	s_mul_i32 s3, s17, s19
	s_mul_hi_u32 s4, s16, s19
	s_mul_i32 s27, s19, s26
	s_mul_i32 s2, s16, s19
	s_add_i32 s3, s4, s3
	s_and_b64 vcc, exec, s[0:1]
	s_cbranch_vccz .LBB0_9
; %bb.1:
	v_mov_b32_e32 v1, s10
	v_mov_b32_e32 v2, s11
.LBB0_2:                                ; =>This Inner Loop Header: Depth=1
	s_lshl_b64 s[4:5], s[36:37], 3
	s_add_u32 s0, s12, s4
	s_addc_u32 s1, s13, s5
	s_load_dwordx2 s[36:37], s[0:1], 0x0
	s_waitcnt lgkmcnt(0)
	s_mov_b32 s35, s37
	s_cmp_lg_u64 s[34:35], 0
	s_cbranch_scc0 .LBB0_7
; %bb.3:                                ;   in Loop: Header=BB0_2 Depth=1
	v_cvt_f32_u32_e32 v3, s36
	v_cvt_f32_u32_e32 v4, s37
	s_sub_u32 s0, 0, s36
	s_subb_u32 s1, 0, s37
	v_mac_f32_e32 v3, 0x4f800000, v4
	v_rcp_f32_e32 v3, v3
	v_mul_f32_e32 v3, 0x5f7ffffc, v3
	v_mul_f32_e32 v4, 0x2f800000, v3
	v_trunc_f32_e32 v4, v4
	v_mac_f32_e32 v3, 0xcf800000, v4
	v_cvt_u32_f32_e32 v4, v4
	v_cvt_u32_f32_e32 v3, v3
	v_readfirstlane_b32 s35, v4
	v_readfirstlane_b32 s38, v3
	s_mul_i32 s39, s0, s35
	s_mul_hi_u32 s42, s0, s38
	s_mul_i32 s41, s1, s38
	s_add_i32 s39, s42, s39
	s_mul_i32 s43, s0, s38
	s_add_i32 s39, s39, s41
	s_mul_hi_u32 s41, s38, s39
	s_mul_i32 s42, s38, s39
	s_mul_hi_u32 s38, s38, s43
	s_add_u32 s38, s38, s42
	s_addc_u32 s41, 0, s41
	s_mul_hi_u32 s44, s35, s43
	s_mul_i32 s43, s35, s43
	s_add_u32 s38, s38, s43
	s_mul_hi_u32 s42, s35, s39
	s_addc_u32 s38, s41, s44
	s_addc_u32 s41, s42, 0
	s_mul_i32 s39, s35, s39
	s_add_u32 s38, s38, s39
	s_addc_u32 s39, 0, s41
	v_add_co_u32_e32 v3, vcc, s38, v3
	s_cmp_lg_u64 vcc, 0
	s_addc_u32 s35, s35, s39
	v_readfirstlane_b32 s39, v3
	s_mul_i32 s38, s0, s35
	s_mul_hi_u32 s41, s0, s39
	s_add_i32 s38, s41, s38
	s_mul_i32 s1, s1, s39
	s_add_i32 s38, s38, s1
	s_mul_i32 s0, s0, s39
	s_mul_hi_u32 s41, s35, s0
	s_mul_i32 s42, s35, s0
	s_mul_i32 s44, s39, s38
	s_mul_hi_u32 s0, s39, s0
	s_mul_hi_u32 s43, s39, s38
	s_add_u32 s0, s0, s44
	s_addc_u32 s39, 0, s43
	s_add_u32 s0, s0, s42
	s_mul_hi_u32 s1, s35, s38
	s_addc_u32 s0, s39, s41
	s_addc_u32 s1, s1, 0
	s_mul_i32 s38, s35, s38
	s_add_u32 s0, s0, s38
	s_addc_u32 s1, 0, s1
	v_add_co_u32_e32 v3, vcc, s0, v3
	s_cmp_lg_u64 vcc, 0
	s_addc_u32 s0, s35, s1
	v_readfirstlane_b32 s35, v3
	s_mul_hi_u32 s1, s31, s0
	s_mul_i32 s0, s31, s0
	s_mul_hi_u32 s35, s31, s35
	s_add_u32 s0, s35, s0
	s_addc_u32 s35, 0, s1
	s_mul_i32 s0, s37, s35
	s_mul_hi_u32 s1, s36, s35
	s_add_i32 s38, s1, s0
	s_mul_i32 s1, s36, s35
	v_mov_b32_e32 v3, s1
	s_sub_i32 s0, 0, s38
	v_sub_co_u32_e32 v3, vcc, s31, v3
	s_cmp_lg_u64 vcc, 0
	s_subb_u32 s39, s0, s37
	v_subrev_co_u32_e64 v4, s[0:1], s36, v3
	s_cmp_lg_u64 s[0:1], 0
	s_subb_u32 s0, s39, 0
	s_cmp_ge_u32 s0, s37
	v_readfirstlane_b32 s39, v4
	s_cselect_b32 s1, -1, 0
	s_cmp_ge_u32 s39, s36
	s_cselect_b32 s39, -1, 0
	s_cmp_eq_u32 s0, s37
	s_cselect_b32 s0, s39, s1
	s_add_u32 s1, s35, 1
	s_addc_u32 s39, 0, 0
	s_add_u32 s41, s35, 2
	s_addc_u32 s42, 0, 0
	s_cmp_lg_u32 s0, 0
	s_cselect_b32 s0, s41, s1
	s_cselect_b32 s1, s42, s39
	s_cmp_lg_u64 vcc, 0
	s_subb_u32 s38, 0, s38
	s_cmp_ge_u32 s38, s37
	v_readfirstlane_b32 s41, v3
	s_cselect_b32 s39, -1, 0
	s_cmp_ge_u32 s41, s36
	s_cselect_b32 s41, -1, 0
	s_cmp_eq_u32 s38, s37
	s_cselect_b32 s38, s41, s39
	s_cmp_lg_u32 s38, 0
	s_cselect_b32 s1, s1, 0
	s_cselect_b32 s0, s0, s35
	s_cbranch_execnz .LBB0_5
.LBB0_4:                                ;   in Loop: Header=BB0_2 Depth=1
	v_cvt_f32_u32_e32 v3, s36
	s_sub_i32 s0, 0, s36
	v_rcp_iflag_f32_e32 v3, v3
	v_mul_f32_e32 v3, 0x4f7ffffe, v3
	v_cvt_u32_f32_e32 v3, v3
	v_readfirstlane_b32 s1, v3
	s_mul_i32 s0, s0, s1
	s_mul_hi_u32 s0, s1, s0
	s_add_i32 s1, s1, s0
	s_mul_hi_u32 s0, s31, s1
	s_mul_i32 s35, s0, s36
	s_sub_i32 s35, s31, s35
	s_add_i32 s1, s0, 1
	s_sub_i32 s38, s35, s36
	s_cmp_ge_u32 s35, s36
	s_cselect_b32 s0, s1, s0
	s_cselect_b32 s35, s38, s35
	s_add_i32 s1, s0, 1
	s_cmp_ge_u32 s35, s36
	s_cselect_b32 s0, s1, s0
	s_mov_b32 s1, s34
.LBB0_5:                                ;   in Loop: Header=BB0_2 Depth=1
	s_mul_i32 s35, s0, s37
	s_mul_hi_u32 s37, s0, s36
	s_add_i32 s35, s37, s35
	s_mul_i32 s1, s1, s36
	s_add_i32 s35, s35, s1
	s_mul_i32 s1, s0, s36
	s_sub_u32 s1, s31, s1
	s_subb_u32 s31, 0, s35
	s_add_u32 s38, s14, s4
	s_addc_u32 s39, s15, s5
	s_load_dwordx2 s[38:39], s[38:39], 0x0
	s_mul_i32 s7, s7, s36
	s_waitcnt lgkmcnt(0)
	s_mul_i32 s35, s38, s31
	s_mul_hi_u32 s37, s38, s1
	s_add_i32 s35, s37, s35
	s_mul_i32 s37, s39, s1
	s_add_i32 s35, s35, s37
	s_mul_i32 s37, s38, s1
	s_add_u32 s27, s37, s27
	s_addc_u32 s40, s35, s40
	s_add_u32 s4, s28, s4
	s_addc_u32 s5, s29, s5
	s_load_dwordx2 s[4:5], s[4:5], 0x0
	s_waitcnt lgkmcnt(0)
	s_mul_i32 s31, s4, s31
	s_mul_hi_u32 s35, s4, s1
	s_add_i32 s31, s35, s31
	s_mul_i32 s5, s5, s1
	s_add_i32 s31, s31, s5
	s_mul_i32 s1, s4, s1
	s_add_u32 s2, s1, s2
	s_addc_u32 s3, s31, s3
	s_mov_b32 s31, s34
	v_cmp_ge_u64_e32 vcc, s[30:31], v[1:2]
	s_mov_b64 s[36:37], s[30:31]
	s_add_i32 s30, s30, 1
	s_cbranch_vccnz .LBB0_8
; %bb.6:                                ;   in Loop: Header=BB0_2 Depth=1
	s_mov_b32 s31, s0
	s_branch .LBB0_2
.LBB0_7:                                ;   in Loop: Header=BB0_2 Depth=1
                                        ; implicit-def: $sgpr0_sgpr1
	s_branch .LBB0_4
.LBB0_8:
	v_cvt_f32_u32_e32 v1, s7
	s_sub_i32 s0, 0, s7
	v_rcp_iflag_f32_e32 v1, v1
	v_mul_f32_e32 v1, 0x4f7ffffe, v1
	v_cvt_u32_f32_e32 v1, v1
	v_readfirstlane_b32 s1, v1
	s_mul_i32 s0, s0, s1
	s_mul_hi_u32 s0, s1, s0
	s_add_i32 s1, s1, s0
	s_mul_hi_u32 s0, s6, s1
	s_mul_i32 s1, s0, s7
	s_sub_i32 s1, s6, s1
	s_add_i32 s4, s0, 1
	s_sub_i32 s5, s1, s7
	s_cmp_ge_u32 s1, s7
	s_cselect_b32 s0, s4, s0
	s_cselect_b32 s1, s5, s1
	s_add_i32 s4, s0, 1
	s_cmp_ge_u32 s1, s7
	s_cselect_b32 s31, s4, s0
.LBB0_9:
	s_lshl_b64 s[0:1], s[10:11], 3
	s_add_u32 s4, s14, s0
	s_addc_u32 s5, s15, s1
	s_load_dwordx2 s[4:5], s[4:5], 0x0
	s_mov_b64 s[10:11], -1
	s_waitcnt lgkmcnt(0)
	s_mul_i32 s5, s5, s31
	s_mul_hi_u32 s6, s4, s31
	s_mul_i32 s4, s4, s31
	s_add_i32 s5, s6, s5
	s_add_u32 s6, s4, s27
	s_addc_u32 s7, s5, s40
	s_add_u32 s0, s28, s0
	s_addc_u32 s1, s29, s1
	s_load_dwordx2 s[0:1], s[0:1], 0x0
	s_add_i32 s4, s19, 8
	s_cmp_le_u32 s4, s33
	s_cselect_b64 s[4:5], -1, 0
	s_and_b64 vcc, exec, s[4:5]
	s_cbranch_vccnz .LBB0_14
; %bb.10:
	s_cmp_lt_u32 s19, s33
	s_cselect_b64 s[12:13], -1, 0
	s_and_saveexec_b64 s[10:11], s[12:13]
	s_cbranch_execz .LBB0_13
; %bb.11:
	v_mad_u64_u32 v[1:2], s[12:13], s24, v0, 0
	v_mov_b32_e32 v3, s19
	v_lshl_add_u32 v6, v0, 2, 0
	v_mad_u64_u32 v[4:5], s[12:13], s25, v0, v[2:3]
	s_lshl_b64 s[12:13], s[6:7], 2
	s_add_u32 s12, s20, s12
	v_mov_b32_e32 v2, v4
	v_lshlrev_b64 v[1:2], 2, v[1:2]
	s_addc_u32 s13, s21, s13
	v_mov_b32_e32 v5, s13
	v_add_co_u32_e32 v4, vcc, s12, v1
	v_addc_co_u32_e32 v5, vcc, v5, v2, vcc
	v_mov_b32_e32 v2, 0
	s_mov_b64 s[12:13], 0
	v_mov_b32_e32 v1, v2
.LBB0_12:                               ; =>This Inner Loop Header: Depth=1
	v_lshlrev_b64 v[7:8], 2, v[1:2]
	v_add_u32_e32 v3, 1, v3
	v_add_co_u32_e32 v7, vcc, v4, v7
	v_addc_co_u32_e32 v8, vcc, v5, v8, vcc
	global_load_dword v7, v[7:8], off
	v_cmp_le_u32_e32 vcc, s33, v3
	v_add_u32_e32 v1, s26, v1
	s_or_b64 s[12:13], vcc, s[12:13]
	s_waitcnt vmcnt(0)
	ds_write_b32 v6, v7
	v_add_u32_e32 v6, 0x400, v6
	s_andn2_b64 exec, exec, s[12:13]
	s_cbranch_execnz .LBB0_12
.LBB0_13:
	s_or_b64 exec, exec, s[10:11]
	s_mov_b64 s[10:11], 0
.LBB0_14:
	s_andn2_b64 vcc, exec, s[10:11]
	s_cbranch_vccnz .LBB0_16
; %bb.15:
	v_mad_u64_u32 v[1:2], s[10:11], s24, v0, 0
	s_lshl_b64 s[6:7], s[6:7], 2
	s_add_u32 s6, s20, s6
	v_mad_u64_u32 v[2:3], s[10:11], s25, v0, v[2:3]
	s_addc_u32 s7, s21, s7
	v_mov_b32_e32 v3, s7
	v_lshlrev_b64 v[1:2], 2, v[1:2]
	s_mov_b32 s27, 0
	v_add_co_u32_e32 v1, vcc, s6, v1
	v_addc_co_u32_e32 v2, vcc, v3, v2, vcc
	s_lshl_b64 s[6:7], s[26:27], 2
	v_mov_b32_e32 v4, s7
	v_add_co_u32_e32 v3, vcc, s6, v1
	s_add_i32 s6, s26, s26
	s_mov_b32 s7, s27
	v_addc_co_u32_e32 v4, vcc, v2, v4, vcc
	s_lshl_b64 s[10:11], s[6:7], 2
	v_mov_b32_e32 v6, s11
	v_add_co_u32_e32 v5, vcc, s10, v1
	s_add_i32 s6, s6, s26
	v_addc_co_u32_e32 v6, vcc, v2, v6, vcc
	s_lshl_b64 s[10:11], s[6:7], 2
	v_mov_b32_e32 v8, s11
	v_add_co_u32_e32 v7, vcc, s10, v1
	s_add_i32 s6, s6, s26
	;; [unrolled: 5-line block ×5, first 2 shown]
	v_addc_co_u32_e32 v14, vcc, v2, v14, vcc
	s_lshl_b64 s[6:7], s[26:27], 2
	v_mov_b32_e32 v16, s7
	v_add_co_u32_e32 v15, vcc, s6, v1
	v_addc_co_u32_e32 v16, vcc, v2, v16, vcc
	global_load_dword v17, v[1:2], off
	global_load_dword v18, v[3:4], off
	;; [unrolled: 1-line block ×8, first 2 shown]
	v_lshl_add_u32 v1, v0, 2, 0
	s_waitcnt vmcnt(7)
	ds_write_b32 v1, v17
	s_waitcnt vmcnt(5)
	ds_write2st64_b32 v1, v18, v19 offset0:4 offset1:8
	s_waitcnt vmcnt(3)
	ds_write2st64_b32 v1, v20, v21 offset0:12 offset1:16
	s_waitcnt vmcnt(1)
	ds_write2st64_b32 v1, v22, v23 offset0:20 offset1:24
	s_waitcnt vmcnt(0)
	ds_write_b32 v1, v24 offset:7168
.LBB0_16:
	v_and_b32_e32 v8, 31, v0
	v_lshlrev_b32_e32 v1, 5, v0
	v_and_b32_e32 v1, 0x1c00, v1
	v_lshlrev_b32_e32 v10, 2, v8
	v_add_u32_e32 v9, 0, v1
	v_add3_u32 v12, 0, v10, v1
	s_waitcnt lgkmcnt(0)
	s_barrier
	v_add_u32_e32 v11, v9, v10
	ds_read2_b32 v[1:2], v12 offset0:96 offset1:128
	ds_read_b32 v7, v11
	ds_read2_b32 v[3:4], v12 offset0:32 offset1:64
	ds_read2_b32 v[5:6], v12 offset0:160 offset1:192
	ds_read_b32 v14, v12 offset:896
	v_mad_u32_u24 v13, v8, 12, v12
	s_waitcnt lgkmcnt(3)
	v_pk_add_f16 v2, v7, v2 neg_lo:[0,1] neg_hi:[0,1]
	v_alignbit_b32 v16, s0, v2, 16
	s_waitcnt lgkmcnt(1)
	v_pk_add_f16 v6, v4, v6 neg_lo:[0,1] neg_hi:[0,1]
	v_alignbit_b32 v15, s0, v6, 16
	v_pk_add_f16 v5, v3, v5 neg_lo:[0,1] neg_hi:[0,1]
	v_pk_fma_f16 v7, v7, 2.0, v2 op_sel_hi:[1,0,1] neg_lo:[0,0,1] neg_hi:[0,0,1]
	v_pk_fma_f16 v4, v4, 2.0, v6 op_sel_hi:[1,0,1] neg_lo:[0,0,1] neg_hi:[0,0,1]
	v_pk_add_f16 v15, v2, v15 neg_lo:[0,1] neg_hi:[0,1]
	v_pk_add_f16 v6, v16, v6
	v_lshrrev_b32_e32 v16, 16, v2
	s_waitcnt lgkmcnt(0)
	v_pk_add_f16 v14, v1, v14 neg_lo:[0,1] neg_hi:[0,1]
	v_alignbit_b32 v19, s0, v5, 16
	v_pk_add_f16 v4, v7, v4 neg_lo:[0,1] neg_hi:[0,1]
	v_fma_f16 v2, v2, 2.0, -v15
	v_fma_f16 v16, v16, 2.0, -v6
	v_pk_fma_f16 v1, v1, 2.0, v14 op_sel_hi:[1,0,1] neg_lo:[0,0,1] neg_hi:[0,0,1]
	v_pk_add_f16 v19, v19, v14
	v_alignbit_b32 v14, s0, v14, 16
	v_pk_fma_f16 v7, v7, 2.0, v4 op_sel_hi:[1,0,1] neg_lo:[0,0,1] neg_hi:[0,0,1]
	v_pk_fma_f16 v3, v3, 2.0, v5 op_sel_hi:[1,0,1] neg_lo:[0,0,1] neg_hi:[0,0,1]
	v_pk_add_f16 v14, v5, v14 neg_lo:[0,1] neg_hi:[0,1]
	v_pack_b32_f16 v2, v2, v16
	v_lshrrev_b32_e32 v16, 16, v5
	v_or_b32_e32 v17, 32, v8
	v_pk_add_f16 v1, v3, v1 neg_lo:[0,1] neg_hi:[0,1]
	v_fma_f16 v5, v5, 2.0, -v14
	v_fma_f16 v16, v16, 2.0, -v19
	s_barrier
	ds_write2_b32 v13, v7, v2 offset1:1
	v_pack_b32_f16 v2, v15, v6
	v_lshl_add_u32 v18, v17, 4, v9
	v_pk_fma_f16 v3, v3, 2.0, v1 op_sel_hi:[1,0,1] neg_lo:[0,0,1] neg_hi:[0,0,1]
	ds_write2_b32 v13, v4, v2 offset0:2 offset1:3
	v_pack_b32_f16 v2, v5, v16
	ds_write2_b32 v18, v3, v2 offset1:1
	v_pack_b32_f16 v2, v14, v19
	v_and_b32_e32 v13, 3, v0
	ds_write2_b32 v18, v1, v2 offset0:2 offset1:3
	v_mul_u32_u24_e32 v1, 3, v13
	v_lshlrev_b32_e32 v1, 2, v1
	s_waitcnt lgkmcnt(0)
	s_barrier
	global_load_dwordx3 v[1:3], v1, s[8:9]
	ds_read2_b32 v[4:5], v12 offset0:96 offset1:128
	ds_read2_b32 v[6:7], v12 offset0:160 offset1:192
	s_movk_i32 s6, 0x70
	v_lshlrev_b32_e32 v17, 2, v17
	s_waitcnt lgkmcnt(1)
	v_lshrrev_b32_e32 v14, 16, v5
	s_waitcnt lgkmcnt(0)
	v_lshrrev_b32_e32 v21, 16, v6
	v_lshrrev_b32_e32 v15, 16, v4
	s_waitcnt vmcnt(0)
	v_mul_f16_sdwa v22, v2, v21 dst_sel:DWORD dst_unused:UNUSED_PAD src0_sel:WORD_1 src1_sel:DWORD
	v_mul_f16_sdwa v16, v2, v14 dst_sel:DWORD dst_unused:UNUSED_PAD src0_sel:WORD_1 src1_sel:DWORD
	;; [unrolled: 1-line block ×3, first 2 shown]
	v_fma_f16 v22, v2, v6, -v22
	v_mul_f16_sdwa v6, v2, v6 dst_sel:DWORD dst_unused:UNUSED_PAD src0_sel:WORD_1 src1_sel:DWORD
	v_fma_f16 v5, v2, v5, -v16
	v_fma_f16 v14, v2, v14, v18
	v_fma_f16 v6, v2, v21, v6
	ds_read_b32 v2, v12 offset:896
	v_mul_f16_sdwa v19, v1, v15 dst_sel:DWORD dst_unused:UNUSED_PAD src0_sel:WORD_1 src1_sel:DWORD
	v_fma_f16 v16, v1, v4, -v19
	v_mul_f16_sdwa v4, v1, v4 dst_sel:DWORD dst_unused:UNUSED_PAD src0_sel:WORD_1 src1_sel:DWORD
	v_lshrrev_b32_e32 v19, 16, v7
	v_fma_f16 v4, v1, v15, v4
	s_waitcnt lgkmcnt(0)
	v_lshrrev_b32_e32 v15, 16, v2
	v_mul_f16_sdwa v20, v3, v19 dst_sel:DWORD dst_unused:UNUSED_PAD src0_sel:WORD_1 src1_sel:DWORD
	v_mul_f16_sdwa v18, v3, v15 dst_sel:DWORD dst_unused:UNUSED_PAD src0_sel:WORD_1 src1_sel:DWORD
	v_fma_f16 v20, v3, v7, -v20
	v_mul_f16_sdwa v7, v3, v7 dst_sel:DWORD dst_unused:UNUSED_PAD src0_sel:WORD_1 src1_sel:DWORD
	v_fma_f16 v18, v3, v2, -v18
	v_mul_f16_sdwa v2, v3, v2 dst_sel:DWORD dst_unused:UNUSED_PAD src0_sel:WORD_1 src1_sel:DWORD
	v_fma_f16 v7, v3, v19, v7
	v_fma_f16 v15, v3, v15, v2
	ds_read2_b32 v[2:3], v12 offset0:32 offset1:64
	v_sub_f16_e32 v18, v16, v18
	v_sub_f16_e32 v15, v4, v15
	v_fma_f16 v16, v16, 2.0, -v18
	v_fma_f16 v4, v4, 2.0, -v15
	s_waitcnt lgkmcnt(0)
	v_lshrrev_b32_e32 v19, 16, v3
	v_mul_f16_sdwa v21, v1, v3 dst_sel:DWORD dst_unused:UNUSED_PAD src0_sel:WORD_1 src1_sel:DWORD
	v_fma_f16 v21, v1, v19, v21
	v_mul_f16_sdwa v19, v1, v19 dst_sel:DWORD dst_unused:UNUSED_PAD src0_sel:WORD_1 src1_sel:DWORD
	v_fma_f16 v1, v1, v3, -v19
	ds_read_b32 v3, v11
	v_sub_f16_e32 v20, v1, v20
	v_sub_f16_e32 v7, v21, v7
	v_fma_f16 v1, v1, 2.0, -v20
	v_fma_f16 v21, v21, 2.0, -v7
	s_waitcnt lgkmcnt(0)
	v_lshrrev_b32_e32 v19, 16, v3
	v_sub_f16_e32 v5, v3, v5
	v_sub_f16_e32 v14, v19, v14
	v_fma_f16 v3, v3, 2.0, -v5
	v_fma_f16 v19, v19, 2.0, -v14
	v_sub_f16_e32 v1, v3, v1
	v_sub_f16_e32 v21, v19, v21
	v_fma_f16 v3, v3, 2.0, -v1
	v_fma_f16 v19, v19, 2.0, -v21
	v_pack_b32_f16 v3, v3, v19
	v_sub_f16_e32 v7, v5, v7
	v_add_f16_e32 v19, v14, v20
	v_fma_f16 v5, v5, 2.0, -v7
	v_fma_f16 v14, v14, 2.0, -v19
	v_pack_b32_f16 v5, v5, v14
	v_and_or_b32 v14, v10, s6, v13
	v_lshl_add_u32 v14, v14, 2, v9
	s_barrier
	ds_write2_b32 v14, v3, v5 offset1:4
	v_lshrrev_b32_e32 v5, 16, v2
	v_sub_f16_e32 v3, v2, v22
	v_sub_f16_e32 v6, v5, v6
	v_fma_f16 v2, v2, 2.0, -v3
	v_fma_f16 v5, v5, 2.0, -v6
	v_pack_b32_f16 v1, v1, v21
	v_sub_f16_e32 v16, v2, v16
	v_sub_f16_e32 v4, v5, v4
	;; [unrolled: 1-line block ×3, first 2 shown]
	v_add_f16_e32 v18, v6, v18
	v_pack_b32_f16 v7, v7, v19
	s_movk_i32 s6, 0xf0
	v_fma_f16 v2, v2, 2.0, -v16
	v_fma_f16 v5, v5, 2.0, -v4
	;; [unrolled: 1-line block ×4, first 2 shown]
	ds_write2_b32 v14, v1, v7 offset0:8 offset1:12
	v_and_or_b32 v1, v17, s6, v13
	v_lshl_add_u32 v1, v1, 2, v9
	v_pack_b32_f16 v2, v2, v5
	v_pack_b32_f16 v3, v3, v6
	ds_write2_b32 v1, v2, v3 offset1:4
	v_pack_b32_f16 v2, v16, v4
	v_pack_b32_f16 v3, v15, v18
	v_and_b32_e32 v13, 15, v0
	ds_write2_b32 v1, v2, v3 offset0:8 offset1:12
	v_mul_u32_u24_e32 v1, 3, v13
	v_lshlrev_b32_e32 v1, 2, v1
	s_waitcnt lgkmcnt(0)
	s_barrier
	global_load_dwordx3 v[1:3], v1, s[8:9] offset:48
	ds_read2_b32 v[4:5], v12 offset0:96 offset1:128
	ds_read2_b32 v[6:7], v12 offset0:160 offset1:192
	v_and_or_b32 v10, v10, 64, v13
	v_lshl_add_u32 v10, v10, 2, v9
	s_movk_i32 s6, 0xc0
	s_waitcnt lgkmcnt(1)
	v_lshrrev_b32_e32 v14, 16, v5
	s_waitcnt lgkmcnt(0)
	v_lshrrev_b32_e32 v21, 16, v6
	v_lshrrev_b32_e32 v15, 16, v4
	s_waitcnt vmcnt(0)
	v_mul_f16_sdwa v22, v2, v21 dst_sel:DWORD dst_unused:UNUSED_PAD src0_sel:WORD_1 src1_sel:DWORD
	v_mul_f16_sdwa v16, v2, v14 dst_sel:DWORD dst_unused:UNUSED_PAD src0_sel:WORD_1 src1_sel:DWORD
	;; [unrolled: 1-line block ×3, first 2 shown]
	v_fma_f16 v22, v2, v6, -v22
	v_mul_f16_sdwa v6, v2, v6 dst_sel:DWORD dst_unused:UNUSED_PAD src0_sel:WORD_1 src1_sel:DWORD
	v_fma_f16 v5, v2, v5, -v16
	v_fma_f16 v14, v2, v14, v18
	v_fma_f16 v6, v2, v21, v6
	ds_read_b32 v2, v12 offset:896
	v_mul_f16_sdwa v19, v1, v15 dst_sel:DWORD dst_unused:UNUSED_PAD src0_sel:WORD_1 src1_sel:DWORD
	v_fma_f16 v16, v1, v4, -v19
	v_mul_f16_sdwa v4, v1, v4 dst_sel:DWORD dst_unused:UNUSED_PAD src0_sel:WORD_1 src1_sel:DWORD
	v_lshrrev_b32_e32 v19, 16, v7
	v_fma_f16 v4, v1, v15, v4
	s_waitcnt lgkmcnt(0)
	v_lshrrev_b32_e32 v15, 16, v2
	v_mul_f16_sdwa v20, v3, v19 dst_sel:DWORD dst_unused:UNUSED_PAD src0_sel:WORD_1 src1_sel:DWORD
	v_mul_f16_sdwa v18, v3, v15 dst_sel:DWORD dst_unused:UNUSED_PAD src0_sel:WORD_1 src1_sel:DWORD
	v_fma_f16 v20, v3, v7, -v20
	v_mul_f16_sdwa v7, v3, v7 dst_sel:DWORD dst_unused:UNUSED_PAD src0_sel:WORD_1 src1_sel:DWORD
	v_fma_f16 v18, v3, v2, -v18
	v_mul_f16_sdwa v2, v3, v2 dst_sel:DWORD dst_unused:UNUSED_PAD src0_sel:WORD_1 src1_sel:DWORD
	v_fma_f16 v7, v3, v19, v7
	v_fma_f16 v15, v3, v15, v2
	ds_read2_b32 v[2:3], v12 offset0:32 offset1:64
	v_sub_f16_e32 v15, v4, v15
	v_fma_f16 v4, v4, 2.0, -v15
	s_waitcnt lgkmcnt(0)
	v_lshrrev_b32_e32 v19, 16, v3
	v_mul_f16_sdwa v21, v1, v3 dst_sel:DWORD dst_unused:UNUSED_PAD src0_sel:WORD_1 src1_sel:DWORD
	v_fma_f16 v21, v1, v19, v21
	v_mul_f16_sdwa v19, v1, v19 dst_sel:DWORD dst_unused:UNUSED_PAD src0_sel:WORD_1 src1_sel:DWORD
	v_fma_f16 v1, v1, v3, -v19
	ds_read_b32 v3, v11
	v_sub_f16_e32 v20, v1, v20
	v_sub_f16_e32 v7, v21, v7
	v_fma_f16 v1, v1, 2.0, -v20
	v_fma_f16 v21, v21, 2.0, -v7
	s_waitcnt lgkmcnt(0)
	v_lshrrev_b32_e32 v19, 16, v3
	v_sub_f16_e32 v5, v3, v5
	v_sub_f16_e32 v14, v19, v14
	v_fma_f16 v3, v3, 2.0, -v5
	v_fma_f16 v19, v19, 2.0, -v14
	v_sub_f16_e32 v1, v3, v1
	v_sub_f16_e32 v21, v19, v21
	v_fma_f16 v3, v3, 2.0, -v1
	v_fma_f16 v19, v19, 2.0, -v21
	v_pack_b32_f16 v3, v3, v19
	v_sub_f16_e32 v7, v5, v7
	v_add_f16_e32 v19, v14, v20
	v_fma_f16 v5, v5, 2.0, -v7
	v_fma_f16 v14, v14, 2.0, -v19
	v_pack_b32_f16 v5, v5, v14
	s_barrier
	ds_write2_b32 v10, v3, v5 offset1:16
	v_lshrrev_b32_e32 v5, 16, v2
	v_sub_f16_e32 v3, v2, v22
	v_sub_f16_e32 v6, v5, v6
	;; [unrolled: 1-line block ×3, first 2 shown]
	v_fma_f16 v2, v2, 2.0, -v3
	v_fma_f16 v5, v5, 2.0, -v6
	;; [unrolled: 1-line block ×3, first 2 shown]
	v_sub_f16_e32 v16, v2, v16
	v_sub_f16_e32 v4, v5, v4
	v_sub_f16_e32 v15, v3, v15
	v_add_f16_e32 v14, v6, v14
	v_pack_b32_f16 v1, v1, v21
	v_pack_b32_f16 v7, v7, v19
	v_fma_f16 v2, v2, 2.0, -v16
	v_fma_f16 v5, v5, 2.0, -v4
	;; [unrolled: 1-line block ×4, first 2 shown]
	ds_write2_b32 v10, v1, v7 offset0:32 offset1:48
	v_and_or_b32 v1, v17, s6, v13
	v_lshl_add_u32 v1, v1, 2, v9
	v_pack_b32_f16 v2, v2, v5
	v_pack_b32_f16 v3, v3, v6
	ds_write2_b32 v1, v2, v3 offset1:16
	v_pack_b32_f16 v2, v16, v4
	v_pack_b32_f16 v3, v15, v14
	ds_write2_b32 v1, v2, v3 offset0:32 offset1:48
	v_mul_u32_u24_e32 v1, 3, v8
	v_lshlrev_b32_e32 v7, 2, v1
	s_waitcnt lgkmcnt(0)
	s_barrier
	global_load_dwordx3 v[1:3], v7, s[8:9] offset:624
	global_load_dwordx3 v[4:6], v7, s[8:9] offset:240
	ds_read2_b32 v[7:8], v12 offset0:96 offset1:128
	ds_read2_b32 v[9:10], v12 offset0:160 offset1:192
	ds_read_b32 v11, v11
	ds_read_u16 v13, v12 offset:898
	ds_read_b32 v14, v12 offset:896
	s_waitcnt lgkmcnt(4)
	v_lshrrev_b32_e32 v15, 16, v7
	s_waitcnt lgkmcnt(3)
	v_lshrrev_b32_e32 v16, 16, v9
	s_waitcnt vmcnt(1)
	v_mul_f16_sdwa v17, v1, v15 dst_sel:DWORD dst_unused:UNUSED_PAD src0_sel:WORD_1 src1_sel:DWORD
	v_mul_f16_sdwa v18, v1, v7 dst_sel:DWORD dst_unused:UNUSED_PAD src0_sel:WORD_1 src1_sel:DWORD
	v_fma_f16 v15, v1, v15, v18
	v_fma_f16 v7, v1, v7, -v17
	s_waitcnt lgkmcnt(1)
	v_mul_f16_sdwa v1, v13, v3 dst_sel:DWORD dst_unused:UNUSED_PAD src0_sel:DWORD src1_sel:WORD_1
	v_mul_f16_sdwa v19, v2, v16 dst_sel:DWORD dst_unused:UNUSED_PAD src0_sel:WORD_1 src1_sel:DWORD
	v_mul_f16_sdwa v18, v2, v9 dst_sel:DWORD dst_unused:UNUSED_PAD src0_sel:WORD_1 src1_sel:DWORD
	s_waitcnt lgkmcnt(0)
	v_fma_f16 v17, v3, v14, -v1
	v_mul_f16_sdwa v1, v3, v14 dst_sel:DWORD dst_unused:UNUSED_PAD src0_sel:WORD_1 src1_sel:DWORD
	v_fma_f16 v9, v2, v9, -v19
	v_fma_f16 v16, v2, v16, v18
	v_fma_f16 v3, v13, v3, v1
	ds_read2_b32 v[1:2], v12 offset0:32 offset1:64
	v_lshrrev_b32_e32 v13, 16, v8
	s_waitcnt vmcnt(0)
	v_mul_f16_sdwa v14, v5, v13 dst_sel:DWORD dst_unused:UNUSED_PAD src0_sel:WORD_1 src1_sel:DWORD
	v_fma_f16 v14, v5, v8, -v14
	v_mul_f16_sdwa v8, v5, v8 dst_sel:DWORD dst_unused:UNUSED_PAD src0_sel:WORD_1 src1_sel:DWORD
	v_fma_f16 v5, v5, v13, v8
	v_lshrrev_b32_e32 v8, 16, v10
	v_mul_f16_sdwa v13, v6, v8 dst_sel:DWORD dst_unused:UNUSED_PAD src0_sel:WORD_1 src1_sel:DWORD
	v_fma_f16 v13, v6, v10, -v13
	v_mul_f16_sdwa v10, v6, v10 dst_sel:DWORD dst_unused:UNUSED_PAD src0_sel:WORD_1 src1_sel:DWORD
	s_waitcnt lgkmcnt(0)
	v_lshrrev_b32_e32 v18, 16, v2
	v_fma_f16 v6, v6, v8, v10
	v_mul_f16_sdwa v8, v4, v2 dst_sel:DWORD dst_unused:UNUSED_PAD src0_sel:WORD_1 src1_sel:DWORD
	v_mul_f16_sdwa v10, v4, v18 dst_sel:DWORD dst_unused:UNUSED_PAD src0_sel:WORD_1 src1_sel:DWORD
	v_fma_f16 v8, v4, v18, v8
	v_fma_f16 v2, v4, v2, -v10
	v_lshrrev_b32_e32 v4, 16, v11
	v_sub_f16_e32 v10, v11, v14
	v_lshrrev_b32_e32 v14, 16, v1
	v_sub_f16_e32 v5, v4, v5
	v_sub_f16_e32 v13, v2, v13
	;; [unrolled: 1-line block ×7, first 2 shown]
	v_fma_f16 v11, v11, 2.0, -v10
	v_fma_f16 v4, v4, 2.0, -v5
	;; [unrolled: 1-line block ×8, first 2 shown]
	v_sub_f16_e32 v2, v11, v2
	v_sub_f16_e32 v8, v4, v8
	;; [unrolled: 1-line block ×4, first 2 shown]
	v_fma_f16 v11, v11, 2.0, -v2
	v_fma_f16 v4, v4, 2.0, -v8
	v_sub_f16_e32 v6, v10, v6
	v_add_f16_e32 v13, v5, v13
	v_fma_f16 v1, v1, 2.0, -v7
	v_fma_f16 v14, v14, 2.0, -v15
	v_sub_f16_e32 v3, v9, v3
	v_add_f16_e32 v17, v16, v17
	v_fma_f16 v10, v10, 2.0, -v6
	v_fma_f16 v5, v5, 2.0, -v13
	;; [unrolled: 1-line block ×4, first 2 shown]
	v_pack_b32_f16 v4, v11, v4
	v_pack_b32_f16 v1, v1, v14
	s_barrier
	v_pack_b32_f16 v5, v10, v5
	ds_write2_b32 v12, v4, v1 offset1:32
	v_pack_b32_f16 v1, v9, v16
	v_pack_b32_f16 v2, v2, v8
	ds_write2_b32 v12, v5, v1 offset0:64 offset1:96
	v_pack_b32_f16 v1, v7, v15
	v_pack_b32_f16 v6, v6, v13
	ds_write2_b32 v12, v2, v1 offset0:128 offset1:160
	v_pack_b32_f16 v1, v3, v17
	ds_write2_b32 v12, v6, v1 offset0:192 offset1:224
	v_and_b32_e32 v1, 7, v0
	v_or_b32_e32 v2, s19, v1
	v_cmp_gt_u32_e32 vcc, s33, v2
	s_or_b64 s[4:5], s[4:5], vcc
	s_waitcnt lgkmcnt(0)
	s_barrier
	s_and_saveexec_b64 s[6:7], s[4:5]
	s_cbranch_execz .LBB0_18
; %bb.17:
	v_mad_u64_u32 v[2:3], s[4:5], s16, v1, 0
	s_mul_i32 s1, s1, s31
	s_mul_hi_u32 s6, s0, s31
	v_mad_u64_u32 v[3:4], s[4:5], s17, v1, v[3:4]
	s_add_i32 s1, s6, s1
	s_mul_i32 s0, s0, s31
	s_lshl_b64 s[0:1], s[0:1], 2
	v_lshrrev_b32_e32 v0, 3, v0
	s_add_u32 s4, s22, s0
	v_mul_lo_u32 v4, v0, s18
	v_lshlrev_b32_e32 v6, 10, v1
	v_lshlrev_b32_e32 v7, 2, v0
	s_addc_u32 s5, s23, s1
	s_lshl_b64 s[0:1], s[2:3], 2
	v_or_b32_e32 v0, v6, v7
	s_add_u32 s0, s4, s0
	v_lshlrev_b64 v[2:3], 2, v[2:3]
	v_add_u32_e32 v8, 0, v0
	s_addc_u32 s1, s5, s1
	v_mov_b32_e32 v5, 0
	ds_read2_b32 v[0:1], v8 offset1:32
	v_mov_b32_e32 v9, s1
	v_add_co_u32_e32 v10, vcc, s0, v2
	v_addc_co_u32_e32 v9, vcc, v9, v3, vcc
	v_lshlrev_b64 v[2:3], 2, v[4:5]
	s_lshl_b32 s0, s18, 5
	v_add_co_u32_e32 v2, vcc, v10, v2
	v_addc_co_u32_e32 v3, vcc, v9, v3, vcc
	v_add_u32_e32 v4, s0, v4
	s_waitcnt lgkmcnt(0)
	global_store_dword v[2:3], v0, off
	v_lshlrev_b64 v[2:3], 2, v[4:5]
	v_add_u32_e32 v4, s0, v4
	v_add_co_u32_e32 v2, vcc, v10, v2
	v_addc_co_u32_e32 v3, vcc, v9, v3, vcc
	global_store_dword v[2:3], v1, off
	ds_read2_b32 v[0:1], v8 offset0:64 offset1:96
	v_lshlrev_b64 v[2:3], 2, v[4:5]
	v_add_u32_e32 v4, s0, v4
	v_add_co_u32_e32 v2, vcc, v10, v2
	v_addc_co_u32_e32 v3, vcc, v9, v3, vcc
	s_waitcnt lgkmcnt(0)
	global_store_dword v[2:3], v0, off
	v_lshlrev_b64 v[2:3], 2, v[4:5]
	v_add_u32_e32 v4, s0, v4
	v_add_co_u32_e32 v2, vcc, v10, v2
	v_addc_co_u32_e32 v3, vcc, v9, v3, vcc
	global_store_dword v[2:3], v1, off
	ds_read_b32 v2, v8 offset:512
	v_lshlrev_b64 v[0:1], 2, v[4:5]
	v_add3_u32 v3, 0, v6, v7
	ds_read_b32 v6, v3 offset:896
	v_add_co_u32_e32 v0, vcc, v10, v0
	v_addc_co_u32_e32 v1, vcc, v9, v1, vcc
	s_waitcnt lgkmcnt(1)
	global_store_dword v[0:1], v2, off
	v_add_u32_e32 v4, s0, v4
	ds_read2_b32 v[0:1], v3 offset0:160 offset1:192
	v_lshlrev_b64 v[2:3], 2, v[4:5]
	v_add_u32_e32 v4, s0, v4
	v_add_co_u32_e32 v2, vcc, v10, v2
	v_addc_co_u32_e32 v3, vcc, v9, v3, vcc
	s_waitcnt lgkmcnt(0)
	global_store_dword v[2:3], v0, off
	v_lshlrev_b64 v[2:3], 2, v[4:5]
	v_add_u32_e32 v4, s0, v4
	v_add_co_u32_e32 v2, vcc, v10, v2
	v_addc_co_u32_e32 v3, vcc, v9, v3, vcc
	global_store_dword v[2:3], v1, off
	v_lshlrev_b64 v[0:1], 2, v[4:5]
	v_add_co_u32_e32 v0, vcc, v10, v0
	v_addc_co_u32_e32 v1, vcc, v9, v1, vcc
	global_store_dword v[0:1], v6, off
.LBB0_18:
	s_endpgm
	.section	.rodata,"a",@progbits
	.p2align	6, 0x0
	.amdhsa_kernel fft_rtc_fwd_len256_factors_4_4_4_4_wgs_256_tpt_32_half_op_CI_CI_sbrc_unaligned
		.amdhsa_group_segment_fixed_size 0
		.amdhsa_private_segment_fixed_size 0
		.amdhsa_kernarg_size 104
		.amdhsa_user_sgpr_count 6
		.amdhsa_user_sgpr_private_segment_buffer 1
		.amdhsa_user_sgpr_dispatch_ptr 0
		.amdhsa_user_sgpr_queue_ptr 0
		.amdhsa_user_sgpr_kernarg_segment_ptr 1
		.amdhsa_user_sgpr_dispatch_id 0
		.amdhsa_user_sgpr_flat_scratch_init 0
		.amdhsa_user_sgpr_private_segment_size 0
		.amdhsa_uses_dynamic_stack 0
		.amdhsa_system_sgpr_private_segment_wavefront_offset 0
		.amdhsa_system_sgpr_workgroup_id_x 1
		.amdhsa_system_sgpr_workgroup_id_y 0
		.amdhsa_system_sgpr_workgroup_id_z 0
		.amdhsa_system_sgpr_workgroup_info 0
		.amdhsa_system_vgpr_workitem_id 0
		.amdhsa_next_free_vgpr 25
		.amdhsa_next_free_sgpr 45
		.amdhsa_reserve_vcc 1
		.amdhsa_reserve_flat_scratch 0
		.amdhsa_float_round_mode_32 0
		.amdhsa_float_round_mode_16_64 0
		.amdhsa_float_denorm_mode_32 3
		.amdhsa_float_denorm_mode_16_64 3
		.amdhsa_dx10_clamp 1
		.amdhsa_ieee_mode 1
		.amdhsa_fp16_overflow 0
		.amdhsa_exception_fp_ieee_invalid_op 0
		.amdhsa_exception_fp_denorm_src 0
		.amdhsa_exception_fp_ieee_div_zero 0
		.amdhsa_exception_fp_ieee_overflow 0
		.amdhsa_exception_fp_ieee_underflow 0
		.amdhsa_exception_fp_ieee_inexact 0
		.amdhsa_exception_int_div_zero 0
	.end_amdhsa_kernel
	.text
.Lfunc_end0:
	.size	fft_rtc_fwd_len256_factors_4_4_4_4_wgs_256_tpt_32_half_op_CI_CI_sbrc_unaligned, .Lfunc_end0-fft_rtc_fwd_len256_factors_4_4_4_4_wgs_256_tpt_32_half_op_CI_CI_sbrc_unaligned
                                        ; -- End function
	.section	.AMDGPU.csdata,"",@progbits
; Kernel info:
; codeLenInByte = 4372
; NumSgprs: 49
; NumVgprs: 25
; ScratchSize: 0
; MemoryBound: 0
; FloatMode: 240
; IeeeMode: 1
; LDSByteSize: 0 bytes/workgroup (compile time only)
; SGPRBlocks: 6
; VGPRBlocks: 6
; NumSGPRsForWavesPerEU: 49
; NumVGPRsForWavesPerEU: 25
; Occupancy: 9
; WaveLimiterHint : 1
; COMPUTE_PGM_RSRC2:SCRATCH_EN: 0
; COMPUTE_PGM_RSRC2:USER_SGPR: 6
; COMPUTE_PGM_RSRC2:TRAP_HANDLER: 0
; COMPUTE_PGM_RSRC2:TGID_X_EN: 1
; COMPUTE_PGM_RSRC2:TGID_Y_EN: 0
; COMPUTE_PGM_RSRC2:TGID_Z_EN: 0
; COMPUTE_PGM_RSRC2:TIDIG_COMP_CNT: 0
	.type	__hip_cuid_8b3b934e7214d3aa,@object ; @__hip_cuid_8b3b934e7214d3aa
	.section	.bss,"aw",@nobits
	.globl	__hip_cuid_8b3b934e7214d3aa
__hip_cuid_8b3b934e7214d3aa:
	.byte	0                               ; 0x0
	.size	__hip_cuid_8b3b934e7214d3aa, 1

	.ident	"AMD clang version 19.0.0git (https://github.com/RadeonOpenCompute/llvm-project roc-6.4.0 25133 c7fe45cf4b819c5991fe208aaa96edf142730f1d)"
	.section	".note.GNU-stack","",@progbits
	.addrsig
	.addrsig_sym __hip_cuid_8b3b934e7214d3aa
	.amdgpu_metadata
---
amdhsa.kernels:
  - .args:
      - .actual_access:  read_only
        .address_space:  global
        .offset:         0
        .size:           8
        .value_kind:     global_buffer
      - .offset:         8
        .size:           8
        .value_kind:     by_value
      - .actual_access:  read_only
        .address_space:  global
        .offset:         16
        .size:           8
        .value_kind:     global_buffer
      - .actual_access:  read_only
        .address_space:  global
        .offset:         24
        .size:           8
        .value_kind:     global_buffer
      - .actual_access:  read_only
        .address_space:  global
        .offset:         32
        .size:           8
        .value_kind:     global_buffer
      - .offset:         40
        .size:           8
        .value_kind:     by_value
      - .actual_access:  read_only
        .address_space:  global
        .offset:         48
        .size:           8
        .value_kind:     global_buffer
      - .actual_access:  read_only
        .address_space:  global
        .offset:         56
        .size:           8
        .value_kind:     global_buffer
      - .offset:         64
        .size:           4
        .value_kind:     by_value
      - .actual_access:  read_only
        .address_space:  global
        .offset:         72
        .size:           8
        .value_kind:     global_buffer
      - .actual_access:  read_only
        .address_space:  global
        .offset:         80
        .size:           8
        .value_kind:     global_buffer
      - .actual_access:  read_only
        .address_space:  global
        .offset:         88
        .size:           8
        .value_kind:     global_buffer
      - .actual_access:  write_only
        .address_space:  global
        .offset:         96
        .size:           8
        .value_kind:     global_buffer
    .group_segment_fixed_size: 0
    .kernarg_segment_align: 8
    .kernarg_segment_size: 104
    .language:       OpenCL C
    .language_version:
      - 2
      - 0
    .max_flat_workgroup_size: 256
    .name:           fft_rtc_fwd_len256_factors_4_4_4_4_wgs_256_tpt_32_half_op_CI_CI_sbrc_unaligned
    .private_segment_fixed_size: 0
    .sgpr_count:     49
    .sgpr_spill_count: 0
    .symbol:         fft_rtc_fwd_len256_factors_4_4_4_4_wgs_256_tpt_32_half_op_CI_CI_sbrc_unaligned.kd
    .uniform_work_group_size: 1
    .uses_dynamic_stack: false
    .vgpr_count:     25
    .vgpr_spill_count: 0
    .wavefront_size: 64
amdhsa.target:   amdgcn-amd-amdhsa--gfx906
amdhsa.version:
  - 1
  - 2
...

	.end_amdgpu_metadata
